;; amdgpu-corpus repo=ROCm/rocFFT kind=compiled arch=gfx1030 opt=O3
	.text
	.amdgcn_target "amdgcn-amd-amdhsa--gfx1030"
	.amdhsa_code_object_version 6
	.protected	fft_rtc_fwd_len686_factors_7_7_7_2_wgs_49_tpt_49_dp_op_CI_CI_unitstride_sbrr_C2R_dirReg ; -- Begin function fft_rtc_fwd_len686_factors_7_7_7_2_wgs_49_tpt_49_dp_op_CI_CI_unitstride_sbrr_C2R_dirReg
	.globl	fft_rtc_fwd_len686_factors_7_7_7_2_wgs_49_tpt_49_dp_op_CI_CI_unitstride_sbrr_C2R_dirReg
	.p2align	8
	.type	fft_rtc_fwd_len686_factors_7_7_7_2_wgs_49_tpt_49_dp_op_CI_CI_unitstride_sbrr_C2R_dirReg,@function
fft_rtc_fwd_len686_factors_7_7_7_2_wgs_49_tpt_49_dp_op_CI_CI_unitstride_sbrr_C2R_dirReg: ; @fft_rtc_fwd_len686_factors_7_7_7_2_wgs_49_tpt_49_dp_op_CI_CI_unitstride_sbrr_C2R_dirReg
; %bb.0:
	s_clause 0x2
	s_load_dwordx4 s[12:15], s[4:5], 0x0
	s_load_dwordx4 s[8:11], s[4:5], 0x58
	;; [unrolled: 1-line block ×3, first 2 shown]
	v_mul_u32_u24_e32 v1, 0x53a, v0
	v_mov_b32_e32 v3, 0
	v_add_nc_u32_sdwa v5, s6, v1 dst_sel:DWORD dst_unused:UNUSED_PAD src0_sel:DWORD src1_sel:WORD_1
	v_mov_b32_e32 v1, 0
	v_mov_b32_e32 v6, v3
	v_mov_b32_e32 v2, 0
	s_waitcnt lgkmcnt(0)
	v_cmp_lt_u64_e64 s0, s[14:15], 2
	s_and_b32 vcc_lo, exec_lo, s0
	s_cbranch_vccnz .LBB0_8
; %bb.1:
	s_load_dwordx2 s[0:1], s[4:5], 0x10
	v_mov_b32_e32 v1, 0
	v_mov_b32_e32 v2, 0
	s_add_u32 s2, s18, 8
	s_addc_u32 s3, s19, 0
	s_add_u32 s6, s16, 8
	s_addc_u32 s7, s17, 0
	v_mov_b32_e32 v45, v2
	v_mov_b32_e32 v44, v1
	s_mov_b64 s[22:23], 1
	s_waitcnt lgkmcnt(0)
	s_add_u32 s20, s0, 8
	s_addc_u32 s21, s1, 0
.LBB0_2:                                ; =>This Inner Loop Header: Depth=1
	s_load_dwordx2 s[24:25], s[20:21], 0x0
                                        ; implicit-def: $vgpr48_vgpr49
	s_mov_b32 s0, exec_lo
	s_waitcnt lgkmcnt(0)
	v_or_b32_e32 v4, s25, v6
	v_cmpx_ne_u64_e32 0, v[3:4]
	s_xor_b32 s1, exec_lo, s0
	s_cbranch_execz .LBB0_4
; %bb.3:                                ;   in Loop: Header=BB0_2 Depth=1
	v_cvt_f32_u32_e32 v4, s24
	v_cvt_f32_u32_e32 v7, s25
	s_sub_u32 s0, 0, s24
	s_subb_u32 s26, 0, s25
	v_fmac_f32_e32 v4, 0x4f800000, v7
	v_rcp_f32_e32 v4, v4
	v_mul_f32_e32 v4, 0x5f7ffffc, v4
	v_mul_f32_e32 v7, 0x2f800000, v4
	v_trunc_f32_e32 v7, v7
	v_fmac_f32_e32 v4, 0xcf800000, v7
	v_cvt_u32_f32_e32 v7, v7
	v_cvt_u32_f32_e32 v4, v4
	v_mul_lo_u32 v8, s0, v7
	v_mul_hi_u32 v9, s0, v4
	v_mul_lo_u32 v10, s26, v4
	v_add_nc_u32_e32 v8, v9, v8
	v_mul_lo_u32 v9, s0, v4
	v_add_nc_u32_e32 v8, v8, v10
	v_mul_hi_u32 v10, v4, v9
	v_mul_lo_u32 v11, v4, v8
	v_mul_hi_u32 v12, v4, v8
	v_mul_hi_u32 v13, v7, v9
	v_mul_lo_u32 v9, v7, v9
	v_mul_hi_u32 v14, v7, v8
	v_mul_lo_u32 v8, v7, v8
	v_add_co_u32 v10, vcc_lo, v10, v11
	v_add_co_ci_u32_e32 v11, vcc_lo, 0, v12, vcc_lo
	v_add_co_u32 v9, vcc_lo, v10, v9
	v_add_co_ci_u32_e32 v9, vcc_lo, v11, v13, vcc_lo
	v_add_co_ci_u32_e32 v10, vcc_lo, 0, v14, vcc_lo
	v_add_co_u32 v8, vcc_lo, v9, v8
	v_add_co_ci_u32_e32 v9, vcc_lo, 0, v10, vcc_lo
	v_add_co_u32 v4, vcc_lo, v4, v8
	v_add_co_ci_u32_e32 v7, vcc_lo, v7, v9, vcc_lo
	v_mul_hi_u32 v8, s0, v4
	v_mul_lo_u32 v10, s26, v4
	v_mul_lo_u32 v9, s0, v7
	v_add_nc_u32_e32 v8, v8, v9
	v_mul_lo_u32 v9, s0, v4
	v_add_nc_u32_e32 v8, v8, v10
	v_mul_hi_u32 v10, v4, v9
	v_mul_lo_u32 v11, v4, v8
	v_mul_hi_u32 v12, v4, v8
	v_mul_hi_u32 v13, v7, v9
	v_mul_lo_u32 v9, v7, v9
	v_mul_hi_u32 v14, v7, v8
	v_mul_lo_u32 v8, v7, v8
	v_add_co_u32 v10, vcc_lo, v10, v11
	v_add_co_ci_u32_e32 v11, vcc_lo, 0, v12, vcc_lo
	v_add_co_u32 v9, vcc_lo, v10, v9
	v_add_co_ci_u32_e32 v9, vcc_lo, v11, v13, vcc_lo
	v_add_co_ci_u32_e32 v10, vcc_lo, 0, v14, vcc_lo
	v_add_co_u32 v8, vcc_lo, v9, v8
	v_add_co_ci_u32_e32 v9, vcc_lo, 0, v10, vcc_lo
	v_add_co_u32 v4, vcc_lo, v4, v8
	v_add_co_ci_u32_e32 v11, vcc_lo, v7, v9, vcc_lo
	v_mul_hi_u32 v13, v5, v4
	v_mad_u64_u32 v[9:10], null, v6, v4, 0
	v_mad_u64_u32 v[7:8], null, v5, v11, 0
	;; [unrolled: 1-line block ×3, first 2 shown]
	v_add_co_u32 v4, vcc_lo, v13, v7
	v_add_co_ci_u32_e32 v7, vcc_lo, 0, v8, vcc_lo
	v_add_co_u32 v4, vcc_lo, v4, v9
	v_add_co_ci_u32_e32 v4, vcc_lo, v7, v10, vcc_lo
	v_add_co_ci_u32_e32 v7, vcc_lo, 0, v12, vcc_lo
	v_add_co_u32 v4, vcc_lo, v4, v11
	v_add_co_ci_u32_e32 v9, vcc_lo, 0, v7, vcc_lo
	v_mul_lo_u32 v10, s25, v4
	v_mad_u64_u32 v[7:8], null, s24, v4, 0
	v_mul_lo_u32 v11, s24, v9
	v_sub_co_u32 v7, vcc_lo, v5, v7
	v_add3_u32 v8, v8, v11, v10
	v_sub_nc_u32_e32 v10, v6, v8
	v_subrev_co_ci_u32_e64 v10, s0, s25, v10, vcc_lo
	v_add_co_u32 v11, s0, v4, 2
	v_add_co_ci_u32_e64 v12, s0, 0, v9, s0
	v_sub_co_u32 v13, s0, v7, s24
	v_sub_co_ci_u32_e32 v8, vcc_lo, v6, v8, vcc_lo
	v_subrev_co_ci_u32_e64 v10, s0, 0, v10, s0
	v_cmp_le_u32_e32 vcc_lo, s24, v13
	v_cmp_eq_u32_e64 s0, s25, v8
	v_cndmask_b32_e64 v13, 0, -1, vcc_lo
	v_cmp_le_u32_e32 vcc_lo, s25, v10
	v_cndmask_b32_e64 v14, 0, -1, vcc_lo
	v_cmp_le_u32_e32 vcc_lo, s24, v7
	;; [unrolled: 2-line block ×3, first 2 shown]
	v_cndmask_b32_e64 v15, 0, -1, vcc_lo
	v_cmp_eq_u32_e32 vcc_lo, s25, v10
	v_cndmask_b32_e64 v7, v15, v7, s0
	v_cndmask_b32_e32 v10, v14, v13, vcc_lo
	v_add_co_u32 v13, vcc_lo, v4, 1
	v_add_co_ci_u32_e32 v14, vcc_lo, 0, v9, vcc_lo
	v_cmp_ne_u32_e32 vcc_lo, 0, v10
	v_cndmask_b32_e32 v8, v14, v12, vcc_lo
	v_cndmask_b32_e32 v10, v13, v11, vcc_lo
	v_cmp_ne_u32_e32 vcc_lo, 0, v7
	v_cndmask_b32_e32 v49, v9, v8, vcc_lo
	v_cndmask_b32_e32 v48, v4, v10, vcc_lo
.LBB0_4:                                ;   in Loop: Header=BB0_2 Depth=1
	s_andn2_saveexec_b32 s0, s1
	s_cbranch_execz .LBB0_6
; %bb.5:                                ;   in Loop: Header=BB0_2 Depth=1
	v_cvt_f32_u32_e32 v4, s24
	s_sub_i32 s1, 0, s24
	v_mov_b32_e32 v49, v3
	v_rcp_iflag_f32_e32 v4, v4
	v_mul_f32_e32 v4, 0x4f7ffffe, v4
	v_cvt_u32_f32_e32 v4, v4
	v_mul_lo_u32 v7, s1, v4
	v_mul_hi_u32 v7, v4, v7
	v_add_nc_u32_e32 v4, v4, v7
	v_mul_hi_u32 v4, v5, v4
	v_mul_lo_u32 v7, v4, s24
	v_add_nc_u32_e32 v8, 1, v4
	v_sub_nc_u32_e32 v7, v5, v7
	v_subrev_nc_u32_e32 v9, s24, v7
	v_cmp_le_u32_e32 vcc_lo, s24, v7
	v_cndmask_b32_e32 v7, v7, v9, vcc_lo
	v_cndmask_b32_e32 v4, v4, v8, vcc_lo
	v_cmp_le_u32_e32 vcc_lo, s24, v7
	v_add_nc_u32_e32 v8, 1, v4
	v_cndmask_b32_e32 v48, v4, v8, vcc_lo
.LBB0_6:                                ;   in Loop: Header=BB0_2 Depth=1
	s_or_b32 exec_lo, exec_lo, s0
	v_mul_lo_u32 v4, v49, s24
	v_mul_lo_u32 v9, v48, s25
	s_load_dwordx2 s[0:1], s[6:7], 0x0
	v_mad_u64_u32 v[7:8], null, v48, s24, 0
	s_load_dwordx2 s[24:25], s[2:3], 0x0
	s_add_u32 s22, s22, 1
	s_addc_u32 s23, s23, 0
	s_add_u32 s2, s2, 8
	s_addc_u32 s3, s3, 0
	s_add_u32 s6, s6, 8
	v_add3_u32 v4, v8, v9, v4
	v_sub_co_u32 v5, vcc_lo, v5, v7
	s_addc_u32 s7, s7, 0
	s_add_u32 s20, s20, 8
	v_sub_co_ci_u32_e32 v4, vcc_lo, v6, v4, vcc_lo
	s_addc_u32 s21, s21, 0
	s_waitcnt lgkmcnt(0)
	v_mul_lo_u32 v6, s0, v4
	v_mul_lo_u32 v7, s1, v5
	v_mad_u64_u32 v[1:2], null, s0, v5, v[1:2]
	v_mul_lo_u32 v4, s24, v4
	v_mul_lo_u32 v8, s25, v5
	v_mad_u64_u32 v[44:45], null, s24, v5, v[44:45]
	v_cmp_ge_u64_e64 s0, s[22:23], s[14:15]
	v_add3_u32 v2, v7, v2, v6
	v_add3_u32 v45, v8, v45, v4
	s_and_b32 vcc_lo, exec_lo, s0
	s_cbranch_vccnz .LBB0_9
; %bb.7:                                ;   in Loop: Header=BB0_2 Depth=1
	v_mov_b32_e32 v5, v48
	v_mov_b32_e32 v6, v49
	s_branch .LBB0_2
.LBB0_8:
	v_mov_b32_e32 v45, v2
	v_mov_b32_e32 v49, v6
	;; [unrolled: 1-line block ×4, first 2 shown]
.LBB0_9:
	s_load_dwordx2 s[0:1], s[4:5], 0x28
	v_mul_hi_u32 v3, 0x539782a, v0
	s_lshl_b64 s[4:5], s[14:15], 3
                                        ; implicit-def: $vgpr46
                                        ; implicit-def: $vgpr4_vgpr5
	s_add_u32 s2, s18, s4
	s_addc_u32 s3, s19, s5
	s_waitcnt lgkmcnt(0)
	v_cmp_gt_u64_e32 vcc_lo, s[0:1], v[48:49]
	v_cmp_le_u64_e64 s0, s[0:1], v[48:49]
	s_and_saveexec_b32 s1, s0
	s_xor_b32 s0, exec_lo, s1
; %bb.10:
	v_mul_u32_u24_e32 v1, 49, v3
	v_mov_b32_e32 v47, 0
                                        ; implicit-def: $vgpr3
	v_sub_nc_u32_e32 v46, v0, v1
                                        ; implicit-def: $vgpr0
                                        ; implicit-def: $vgpr1_vgpr2
	v_mov_b32_e32 v4, v46
	v_mov_b32_e32 v5, v47
; %bb.11:
	s_or_saveexec_b32 s1, s0
	s_load_dwordx2 s[2:3], s[2:3], 0x0
	s_xor_b32 exec_lo, exec_lo, s1
	s_cbranch_execz .LBB0_15
; %bb.12:
	s_add_u32 s4, s16, s4
	s_addc_u32 s5, s17, s5
	v_lshlrev_b64 v[1:2], 4, v[1:2]
	s_load_dwordx2 s[4:5], s[4:5], 0x0
	v_mov_b32_e32 v47, 0
	s_waitcnt lgkmcnt(0)
	v_mul_lo_u32 v6, s5, v48
	v_mul_lo_u32 v7, s4, v49
	v_mad_u64_u32 v[4:5], null, s4, v48, 0
	s_mov_b32 s4, exec_lo
	v_add3_u32 v5, v5, v7, v6
	v_mul_u32_u24_e32 v6, 49, v3
	v_lshlrev_b64 v[3:4], 4, v[4:5]
	v_sub_nc_u32_e32 v46, v0, v6
	v_lshlrev_b32_e32 v70, 4, v46
	v_add_co_u32 v0, s0, s8, v3
	v_add_co_ci_u32_e64 v3, s0, s9, v4, s0
	v_add_co_u32 v0, s0, v0, v1
	v_add_co_ci_u32_e64 v1, s0, v3, v2, s0
	v_add_co_u32 v2, s0, v0, v70
	v_add_co_ci_u32_e64 v3, s0, 0, v1, s0
	s_clause 0x1
	global_load_dwordx4 v[6:9], v[2:3], off
	global_load_dwordx4 v[10:13], v[2:3], off offset:784
	v_add_co_u32 v4, s0, 0x800, v2
	v_add_co_ci_u32_e64 v5, s0, 0, v3, s0
	v_add_co_u32 v34, s0, 0x1000, v2
	v_add_co_ci_u32_e64 v35, s0, 0, v3, s0
	;; [unrolled: 2-line block ×4, first 2 shown]
	s_clause 0xb
	global_load_dwordx4 v[14:17], v[2:3], off offset:1568
	global_load_dwordx4 v[18:21], v[4:5], off offset:304
	;; [unrolled: 1-line block ×12, first 2 shown]
	v_mov_b32_e32 v4, v46
	v_add_nc_u32_e32 v2, 0, v70
	v_mov_b32_e32 v5, v47
	s_waitcnt vmcnt(13)
	ds_write_b128 v2, v[6:9]
	s_waitcnt vmcnt(12)
	ds_write_b128 v2, v[10:13] offset:784
	s_waitcnt vmcnt(11)
	ds_write_b128 v2, v[14:17] offset:1568
	;; [unrolled: 2-line block ×13, first 2 shown]
	v_cmpx_eq_u32_e32 48, v46
	s_cbranch_execz .LBB0_14
; %bb.13:
	v_add_co_u32 v0, s0, 0x2800, v0
	v_add_co_ci_u32_e64 v1, s0, 0, v1, s0
	v_mov_b32_e32 v4, 48
	v_mov_b32_e32 v5, 0
	;; [unrolled: 1-line block ×3, first 2 shown]
	global_load_dwordx4 v[0:3], v[0:1], off offset:736
	s_waitcnt vmcnt(0)
	ds_write_b128 v47, v[0:3] offset:10976
.LBB0_14:
	s_or_b32 exec_lo, exec_lo, s4
.LBB0_15:
	s_or_b32 exec_lo, exec_lo, s1
	v_lshlrev_b32_e32 v0, 4, v46
	s_waitcnt lgkmcnt(0)
	s_barrier
	buffer_gl0_inv
	v_lshlrev_b64 v[52:53], 4, v[4:5]
	v_add_nc_u32_e32 v94, 0, v0
	v_sub_nc_u32_e32 v14, 0, v0
	s_add_u32 s1, s12, 0x2a70
	s_addc_u32 s4, s13, 0
	s_mov_b32 s5, exec_lo
	ds_read_b64 v[6:7], v94
	ds_read_b64 v[8:9], v14 offset:10976
	s_waitcnt lgkmcnt(0)
	v_add_f64 v[0:1], v[6:7], v[8:9]
	v_add_f64 v[2:3], v[6:7], -v[8:9]
	v_cmpx_ne_u32_e32 0, v46
	s_xor_b32 s5, exec_lo, s5
	s_cbranch_execz .LBB0_17
; %bb.16:
	v_add_co_u32 v0, s0, s1, v52
	v_add_co_ci_u32_e64 v1, s0, s4, v53, s0
	v_add_f64 v[12:13], v[6:7], v[8:9]
	v_add_f64 v[8:9], v[6:7], -v[8:9]
	global_load_dwordx4 v[2:5], v[0:1], off
	ds_read_b64 v[0:1], v14 offset:10984
	ds_read_b64 v[10:11], v94 offset:8
	s_waitcnt lgkmcnt(0)
	v_add_f64 v[6:7], v[0:1], v[10:11]
	v_add_f64 v[0:1], v[10:11], -v[0:1]
	s_waitcnt vmcnt(0)
	v_fma_f64 v[10:11], v[8:9], v[4:5], v[12:13]
	v_fma_f64 v[12:13], -v[8:9], v[4:5], v[12:13]
	v_fma_f64 v[15:16], v[6:7], v[4:5], -v[0:1]
	v_fma_f64 v[17:18], v[6:7], v[4:5], v[0:1]
	v_fma_f64 v[0:1], -v[6:7], v[2:3], v[10:11]
	v_fma_f64 v[4:5], v[6:7], v[2:3], v[12:13]
	v_fma_f64 v[6:7], v[8:9], v[2:3], v[15:16]
	v_fma_f64 v[2:3], v[8:9], v[2:3], v[17:18]
	ds_write_b128 v14, v[4:7] offset:10976
.LBB0_17:
	s_andn2_saveexec_b32 s0, s5
	s_cbranch_execz .LBB0_19
; %bb.18:
	v_mov_b32_e32 v8, 0
	ds_read_b128 v[4:7], v8 offset:5488
	s_waitcnt lgkmcnt(0)
	v_add_f64 v[4:5], v[4:5], v[4:5]
	v_mul_f64 v[6:7], v[6:7], -2.0
	ds_write_b128 v8, v[4:7] offset:5488
.LBB0_19:
	s_or_b32 exec_lo, exec_lo, s0
	v_mov_b32_e32 v47, 0
	v_add_nc_u16 v105, v46, 49
	s_mov_b32 s6, 0x37e14327
	s_mov_b32 s8, 0x36b3c0b5
	s_mov_b32 s26, 0xe976ee23
	v_lshlrev_b64 v[50:51], 4, v[46:47]
	s_mov_b32 s7, 0x3fe948f6
	s_mov_b32 s9, 0x3fac98ee
	;; [unrolled: 1-line block ×5, first 2 shown]
	v_add_co_u32 v12, s0, s1, v50
	v_add_co_ci_u32_e64 v13, s0, s4, v51, s0
	s_mov_b32 s4, 0xaaaaaaaa
	v_add_co_u32 v27, s0, 0x800, v12
	s_clause 0x1
	global_load_dwordx4 v[4:7], v[12:13], off offset:784
	global_load_dwordx4 v[8:11], v[12:13], off offset:1568
	v_add_co_ci_u32_e64 v28, s0, 0, v13, s0
	ds_write_b128 v94, v[0:3]
	v_add_co_u32 v12, s0, 0x1000, v12
	global_load_dwordx4 v[15:18], v[27:28], off offset:304
	ds_read_b128 v[0:3], v94 offset:784
	ds_read_b128 v[19:22], v14 offset:10192
	global_load_dwordx4 v[23:26], v[27:28], off offset:1088
	v_add_co_ci_u32_e64 v13, s0, 0, v13, s0
	s_mov_b32 s18, 0x5476071b
	s_mov_b32 s20, 0xb247c609
	;; [unrolled: 1-line block ×11, first 2 shown]
	v_mov_b32_e32 v107, 6
	s_waitcnt lgkmcnt(0)
	v_add_f64 v[29:30], v[0:1], v[19:20]
	v_add_f64 v[31:32], v[21:22], v[2:3]
	v_add_f64 v[33:34], v[0:1], -v[19:20]
	v_add_f64 v[0:1], v[2:3], -v[21:22]
	s_waitcnt vmcnt(3)
	v_fma_f64 v[2:3], v[33:34], v[6:7], v[29:30]
	v_fma_f64 v[19:20], v[31:32], v[6:7], v[0:1]
	v_fma_f64 v[21:22], -v[33:34], v[6:7], v[29:30]
	v_fma_f64 v[6:7], v[31:32], v[6:7], -v[0:1]
	v_fma_f64 v[0:1], -v[31:32], v[4:5], v[2:3]
	v_fma_f64 v[2:3], v[33:34], v[4:5], v[19:20]
	v_fma_f64 v[19:20], v[31:32], v[4:5], v[21:22]
	;; [unrolled: 1-line block ×3, first 2 shown]
	ds_write_b128 v94, v[0:3] offset:784
	ds_write_b128 v14, v[19:22] offset:10192
	ds_read_b128 v[0:3], v94 offset:1568
	ds_read_b128 v[4:7], v14 offset:9408
	global_load_dwordx4 v[19:22], v[27:28], off offset:1872
	s_waitcnt lgkmcnt(0)
	v_add_f64 v[27:28], v[0:1], v[4:5]
	v_add_f64 v[29:30], v[6:7], v[2:3]
	v_add_f64 v[31:32], v[0:1], -v[4:5]
	v_add_f64 v[0:1], v[2:3], -v[6:7]
	s_waitcnt vmcnt(3)
	v_fma_f64 v[2:3], v[31:32], v[10:11], v[27:28]
	v_fma_f64 v[4:5], v[29:30], v[10:11], v[0:1]
	v_fma_f64 v[6:7], -v[31:32], v[10:11], v[27:28]
	v_fma_f64 v[10:11], v[29:30], v[10:11], -v[0:1]
	v_fma_f64 v[0:1], -v[29:30], v[8:9], v[2:3]
	v_fma_f64 v[2:3], v[31:32], v[8:9], v[4:5]
	v_fma_f64 v[4:5], v[29:30], v[8:9], v[6:7]
	;; [unrolled: 1-line block ×3, first 2 shown]
	ds_write_b128 v94, v[0:3] offset:1568
	ds_write_b128 v14, v[4:7] offset:9408
	ds_read_b128 v[4:7], v94 offset:2352
	ds_read_b128 v[8:11], v14 offset:8624
	global_load_dwordx4 v[0:3], v[12:13], off offset:608
	s_waitcnt lgkmcnt(0)
	v_add_f64 v[12:13], v[4:5], v[8:9]
	v_add_f64 v[27:28], v[10:11], v[6:7]
	v_add_f64 v[29:30], v[4:5], -v[8:9]
	v_add_f64 v[4:5], v[6:7], -v[10:11]
	s_waitcnt vmcnt(3)
	v_fma_f64 v[6:7], v[29:30], v[17:18], v[12:13]
	v_fma_f64 v[8:9], v[27:28], v[17:18], v[4:5]
	v_fma_f64 v[10:11], -v[29:30], v[17:18], v[12:13]
	v_fma_f64 v[12:13], v[27:28], v[17:18], -v[4:5]
	v_fma_f64 v[4:5], -v[27:28], v[15:16], v[6:7]
	v_fma_f64 v[6:7], v[29:30], v[15:16], v[8:9]
	v_fma_f64 v[8:9], v[27:28], v[15:16], v[10:11]
	v_fma_f64 v[10:11], v[29:30], v[15:16], v[12:13]
	ds_write_b128 v94, v[4:7] offset:2352
	ds_write_b128 v14, v[8:11] offset:8624
	ds_read_b128 v[4:7], v94 offset:3136
	ds_read_b128 v[8:11], v14 offset:7840
	s_waitcnt lgkmcnt(0)
	v_add_f64 v[12:13], v[4:5], v[8:9]
	v_add_f64 v[15:16], v[10:11], v[6:7]
	v_add_f64 v[17:18], v[4:5], -v[8:9]
	v_add_f64 v[4:5], v[6:7], -v[10:11]
	s_waitcnt vmcnt(2)
	v_fma_f64 v[6:7], v[17:18], v[25:26], v[12:13]
	v_fma_f64 v[8:9], v[15:16], v[25:26], v[4:5]
	v_fma_f64 v[10:11], -v[17:18], v[25:26], v[12:13]
	v_fma_f64 v[12:13], v[15:16], v[25:26], -v[4:5]
	v_fma_f64 v[4:5], -v[15:16], v[23:24], v[6:7]
	v_fma_f64 v[6:7], v[17:18], v[23:24], v[8:9]
	v_fma_f64 v[8:9], v[15:16], v[23:24], v[10:11]
	v_fma_f64 v[10:11], v[17:18], v[23:24], v[12:13]
	ds_write_b128 v94, v[4:7] offset:3136
	ds_write_b128 v14, v[8:11] offset:7840
	ds_read_b128 v[4:7], v94 offset:3920
	ds_read_b128 v[8:11], v14 offset:7056
	;; [unrolled: 18-line block ×3, first 2 shown]
	s_waitcnt lgkmcnt(0)
	v_add_f64 v[15:16], v[6:7], v[10:11]
	v_add_f64 v[4:5], v[12:13], v[8:9]
	v_add_f64 v[6:7], v[6:7], -v[10:11]
	v_add_f64 v[17:18], v[8:9], -v[12:13]
	s_waitcnt vmcnt(0)
	v_fma_f64 v[8:9], v[6:7], v[2:3], v[15:16]
	v_fma_f64 v[10:11], v[4:5], v[2:3], v[17:18]
	v_fma_f64 v[12:13], -v[6:7], v[2:3], v[15:16]
	v_fma_f64 v[2:3], v[4:5], v[2:3], -v[17:18]
	v_and_b32_e32 v15, 0xff, v46
	v_mul_lo_u16 v15, v15, 37
	v_lshrrev_b16 v15, 8, v15
	v_sub_nc_u16 v16, v46, v15
	v_fma_f64 v[8:9], -v[4:5], v[0:1], v[8:9]
	v_fma_f64 v[10:11], v[6:7], v[0:1], v[10:11]
	v_fma_f64 v[4:5], v[4:5], v[0:1], v[12:13]
	;; [unrolled: 1-line block ×3, first 2 shown]
	v_and_b32_e32 v0, 0xff, v105
	v_lshrrev_b16 v1, 1, v16
	ds_write_b128 v94, v[8:11] offset:4704
	ds_write_b128 v14, v[4:7] offset:6272
	v_mul_lo_u16 v0, v0, 37
	v_and_b32_e32 v1, 0x7f, v1
	s_waitcnt lgkmcnt(0)
	s_barrier
	buffer_gl0_inv
	v_lshrrev_b16 v106, 8, v0
	v_add_nc_u16 v0, v1, v15
	s_barrier
	buffer_gl0_inv
	v_sub_nc_u16 v40, v105, v106
	v_lshrrev_b16 v71, 2, v0
	ds_read_b128 v[0:3], v94 offset:9408
	ds_read_b128 v[4:7], v94 offset:1568
	;; [unrolled: 1-line block ×10, first 2 shown]
	v_lshrrev_b16 v58, 1, v40
	ds_read_b128 v[40:43], v94 offset:5488
	ds_read_b128 v[54:57], v94 offset:7056
	v_mul_lo_u16 v59, v71, 7
	v_and_b32_e32 v108, 0x7f, v58
	v_sub_nc_u16 v70, v46, v59
	ds_read_b128 v[58:61], v94
	ds_read_b128 v[62:65], v94 offset:784
	s_waitcnt lgkmcnt(12)
	v_add_f64 v[66:67], v[4:5], v[0:1]
	v_add_f64 v[68:69], v[6:7], v[2:3]
	s_waitcnt lgkmcnt(10)
	v_add_f64 v[72:73], v[8:9], v[12:13]
	v_add_f64 v[74:75], v[10:11], v[14:15]
	;; [unrolled: 3-line block ×4, first 2 shown]
	s_waitcnt lgkmcnt(4)
	v_add_f64 v[84:85], v[36:37], v[32:33]
	v_add_f64 v[0:1], v[4:5], -v[0:1]
	v_add_f64 v[4:5], v[38:39], v[34:35]
	v_add_f64 v[2:3], v[6:7], -v[2:3]
	v_add_f64 v[6:7], v[8:9], -v[12:13]
	s_waitcnt lgkmcnt(2)
	v_add_f64 v[8:9], v[40:41], v[54:55]
	v_add_f64 v[10:11], v[10:11], -v[14:15]
	v_add_f64 v[12:13], v[32:33], -v[36:37]
	;; [unrolled: 1-line block ×9, first 2 shown]
	v_add_f64 v[20:21], v[42:43], v[56:57]
	v_add_f64 v[30:31], v[72:73], v[66:67]
	;; [unrolled: 1-line block ×3, first 2 shown]
	v_add_f64 v[38:39], v[72:73], -v[66:67]
	v_add_f64 v[54:55], v[74:75], -v[68:69]
	v_add_f64 v[34:35], v[80:81], v[76:77]
	v_add_f64 v[36:37], v[82:83], v[78:79]
	v_add_f64 v[40:41], v[66:67], -v[84:85]
	v_add_f64 v[42:43], v[84:85], -v[72:73]
	;; [unrolled: 1-line block ×7, first 2 shown]
	v_add_f64 v[80:81], v[12:13], v[6:7]
	v_add_f64 v[86:87], v[14:15], v[10:11]
	v_add_f64 v[90:91], v[12:13], -v[6:7]
	v_add_f64 v[88:89], v[28:29], v[24:25]
	v_add_f64 v[6:7], v[14:15], -v[10:11]
	v_add_f64 v[10:11], v[10:11], -v[2:3]
	v_add_f64 v[92:93], v[26:27], v[22:23]
	v_add_f64 v[72:73], v[76:77], -v[8:9]
	v_add_f64 v[76:77], v[82:83], -v[78:79]
	v_add_f64 v[30:31], v[84:85], v[30:31]
	v_add_f64 v[32:33], v[4:5], v[32:33]
	v_add_f64 v[78:79], v[78:79], -v[20:21]
	v_add_f64 v[82:83], v[20:21], -v[82:83]
	;; [unrolled: 1-line block ×4, first 2 shown]
	v_add_f64 v[8:9], v[8:9], v[34:35]
	v_add_f64 v[20:21], v[20:21], v[36:37]
	v_add_f64 v[24:25], v[24:25], -v[16:17]
	v_add_f64 v[22:23], v[22:23], -v[18:19]
	;; [unrolled: 1-line block ×6, first 2 shown]
	v_add_f64 v[34:35], v[80:81], v[0:1]
	v_add_f64 v[36:37], v[86:87], v[2:3]
	v_mul_f64 v[40:41], v[40:41], s[6:7]
	v_mul_f64 v[80:81], v[42:43], s[8:9]
	v_add_f64 v[16:17], v[88:89], v[16:17]
	v_mul_f64 v[56:57], v[56:57], s[6:7]
	v_mul_f64 v[86:87], v[66:67], s[8:9]
	;; [unrolled: 3-line block ×3, first 2 shown]
	s_waitcnt lgkmcnt(1)
	v_add_f64 v[0:1], v[58:59], v[30:31]
	v_add_f64 v[2:3], v[60:61], v[32:33]
	v_mul_f64 v[90:91], v[95:96], s[22:23]
	v_mul_f64 v[97:98], v[10:11], s[22:23]
	;; [unrolled: 1-line block ×8, first 2 shown]
	s_waitcnt lgkmcnt(0)
	v_add_f64 v[4:5], v[62:63], v[8:9]
	v_add_f64 v[6:7], v[64:65], v[20:21]
	v_mul_f64 v[101:102], v[24:25], s[22:23]
	v_mul_f64 v[103:104], v[22:23], s[22:23]
	v_fma_f64 v[42:43], v[42:43], s[8:9], v[40:41]
	v_fma_f64 v[62:63], v[38:39], s[18:19], -v[80:81]
	v_fma_f64 v[38:39], v[38:39], s[16:17], -v[40:41]
	v_fma_f64 v[40:41], v[66:67], s[8:9], v[56:57]
	v_fma_f64 v[64:65], v[54:55], s[18:19], -v[86:87]
	v_fma_f64 v[54:55], v[54:55], s[16:17], -v[56:57]
	v_fma_f64 v[56:57], v[12:13], s[20:21], v[88:89]
	v_fma_f64 v[80:81], v[14:15], s[20:21], v[92:93]
	;; [unrolled: 1-line block ×4, first 2 shown]
	v_fma_f64 v[66:67], v[95:96], s[22:23], -v[88:89]
	v_fma_f64 v[12:13], v[12:13], s[24:25], -v[90:91]
	;; [unrolled: 1-line block ×4, first 2 shown]
	v_fma_f64 v[74:75], v[74:75], s[8:9], v[58:59]
	v_fma_f64 v[60:61], v[68:69], s[18:19], -v[60:61]
	v_fma_f64 v[86:87], v[28:29], s[20:21], v[99:100]
	v_fma_f64 v[58:59], v[68:69], s[16:17], -v[58:59]
	v_fma_f64 v[68:69], v[76:77], s[18:19], -v[78:79]
	v_fma_f64 v[8:9], v[8:9], s[4:5], v[4:5]
	v_fma_f64 v[20:21], v[20:21], s[4:5], v[6:7]
	;; [unrolled: 1-line block ×4, first 2 shown]
	v_fma_f64 v[28:29], v[28:29], s[24:25], -v[101:102]
	v_fma_f64 v[22:23], v[22:23], s[22:23], -v[84:85]
	;; [unrolled: 1-line block ×5, first 2 shown]
	v_fma_f64 v[56:57], v[34:35], s[14:15], v[56:57]
	v_fma_f64 v[76:77], v[36:37], s[14:15], v[80:81]
	v_add_f64 v[62:63], v[62:63], v[30:31]
	v_add_f64 v[64:65], v[64:65], v[32:33]
	;; [unrolled: 1-line block ×6, first 2 shown]
	v_fma_f64 v[66:67], v[34:35], s[14:15], v[66:67]
	v_fma_f64 v[34:35], v[34:35], s[14:15], v[12:13]
	;; [unrolled: 1-line block ×5, first 2 shown]
	v_add_f64 v[42:43], v[60:61], v[8:9]
	v_add_f64 v[60:61], v[68:69], v[20:21]
	v_fma_f64 v[68:69], v[18:19], s[14:15], v[78:79]
	v_add_f64 v[74:75], v[74:75], v[8:9]
	v_add_f64 v[82:83], v[82:83], v[20:21]
	v_fma_f64 v[86:87], v[16:17], s[14:15], v[28:29]
	v_fma_f64 v[40:41], v[18:19], s[14:15], v[22:23]
	;; [unrolled: 1-line block ×3, first 2 shown]
	v_add_f64 v[58:59], v[58:59], v[8:9]
	v_add_f64 v[72:73], v[72:73], v[20:21]
	v_fma_f64 v[84:85], v[16:17], s[14:15], v[24:25]
	v_add_nc_u16 v88, v108, v106
	v_mul_u32_u24_sdwa v89, v70, v107 dst_sel:DWORD dst_unused:UNUSED_PAD src0_sel:BYTE_0 src1_sel:DWORD
	s_barrier
	v_add_f64 v[24:25], v[30:31], v[76:77]
	v_add_f64 v[26:27], v[32:33], -v[56:57]
	v_add_f64 v[10:11], v[66:67], v[64:65]
	v_add_f64 v[18:19], v[54:55], -v[34:35]
	v_add_f64 v[8:9], v[62:63], -v[12:13]
	v_add_f64 v[16:17], v[38:39], v[36:37]
	v_add_f64 v[12:13], v[62:63], v[12:13]
	v_add_f64 v[14:15], v[64:65], -v[66:67]
	v_add_f64 v[20:21], v[38:39], -v[36:37]
	v_add_f64 v[22:23], v[34:35], v[54:55]
	v_add_f64 v[28:29], v[30:31], -v[76:77]
	v_add_f64 v[30:31], v[56:57], v[32:33]
	v_add_f64 v[54:55], v[74:75], v[68:69]
	v_add_f64 v[56:57], v[82:83], -v[80:81]
	v_add_f64 v[32:33], v[42:43], -v[40:41]
	v_add_f64 v[36:37], v[42:43], v[40:41]
	v_add_f64 v[40:41], v[58:59], v[78:79]
	v_add_f64 v[42:43], v[72:73], -v[86:87]
	v_add_f64 v[34:35], v[84:85], v[60:61]
	v_add_f64 v[38:39], v[60:61], -v[84:85]
	v_add_f64 v[58:59], v[58:59], -v[78:79]
	v_add_f64 v[60:61], v[86:87], v[72:73]
	v_add_f64 v[62:63], v[74:75], -v[68:69]
	v_add_f64 v[64:65], v[80:81], v[82:83]
	v_mad_u32_u24 v66, 0x60, v46, v94
	v_lshrrev_b16 v73, 2, v88
	buffer_gl0_inv
	ds_write_b128 v66, v[0:3]
	ds_write_b128 v66, v[4:7] offset:5488
	ds_write_b128 v66, v[24:27] offset:16
	;; [unrolled: 1-line block ×13, first 2 shown]
	v_mul_lo_u16 v0, v73, 7
	v_lshlrev_b32_e32 v67, 4, v89
	s_waitcnt lgkmcnt(0)
	s_barrier
	buffer_gl0_inv
	v_sub_nc_u16 v72, v105, v0
	s_clause 0x2
	global_load_dwordx4 v[8:11], v67, s[12:13]
	global_load_dwordx4 v[12:15], v67, s[12:13] offset:16
	global_load_dwordx4 v[24:27], v67, s[12:13] offset:64
	v_mul_u32_u24_sdwa v0, v72, v107 dst_sel:DWORD dst_unused:UNUSED_PAD src0_sel:BYTE_0 src1_sel:DWORD
	v_lshlrev_b32_e32 v0, 4, v0
	s_clause 0x8
	global_load_dwordx4 v[28:31], v67, s[12:13] offset:80
	global_load_dwordx4 v[36:39], v0, s[12:13]
	global_load_dwordx4 v[40:43], v0, s[12:13] offset:16
	global_load_dwordx4 v[54:57], v0, s[12:13] offset:80
	global_load_dwordx4 v[58:61], v67, s[12:13] offset:32
	global_load_dwordx4 v[74:77], v0, s[12:13] offset:64
	global_load_dwordx4 v[78:81], v67, s[12:13] offset:48
	global_load_dwordx4 v[4:7], v0, s[12:13] offset:32
	global_load_dwordx4 v[0:3], v0, s[12:13] offset:48
	ds_read_b128 v[18:21], v94 offset:1568
	ds_read_b128 v[32:35], v94 offset:3136
	;; [unrolled: 1-line block ×10, first 2 shown]
	s_waitcnt vmcnt(11) lgkmcnt(9)
	v_mul_f64 v[16:17], v[20:21], v[10:11]
	v_mul_f64 v[10:11], v[18:19], v[10:11]
	s_waitcnt vmcnt(10) lgkmcnt(8)
	v_mul_f64 v[22:23], v[34:35], v[14:15]
	v_mul_f64 v[14:15], v[32:33], v[14:15]
	s_waitcnt vmcnt(9) lgkmcnt(7)
	v_mul_f64 v[107:108], v[64:65], v[26:27]
	s_waitcnt vmcnt(8) lgkmcnt(6)
	v_mul_f64 v[111:112], v[68:69], v[30:31]
	v_mul_f64 v[109:110], v[62:63], v[26:27]
	;; [unrolled: 1-line block ×3, first 2 shown]
	s_waitcnt vmcnt(7) lgkmcnt(5)
	v_mul_f64 v[113:114], v[84:85], v[38:39]
	v_mul_f64 v[38:39], v[82:83], v[38:39]
	s_waitcnt vmcnt(6) lgkmcnt(4)
	v_mul_f64 v[115:116], v[88:89], v[42:43]
	v_mul_f64 v[42:43], v[86:87], v[42:43]
	v_fma_f64 v[18:19], v[18:19], v[8:9], -v[16:17]
	v_fma_f64 v[16:17], v[20:21], v[8:9], v[10:11]
	v_fma_f64 v[22:23], v[32:33], v[12:13], -v[22:23]
	v_fma_f64 v[20:21], v[34:35], v[12:13], v[14:15]
	ds_read_b128 v[8:11], v94 offset:5488
	ds_read_b128 v[12:15], v94 offset:7056
	v_fma_f64 v[26:27], v[62:63], v[24:25], -v[107:108]
	v_fma_f64 v[34:35], v[66:67], v[28:29], -v[111:112]
	s_waitcnt vmcnt(5) lgkmcnt(2)
	v_mul_f64 v[107:108], v[97:98], v[56:57]
	v_mul_f64 v[56:57], v[95:96], v[56:57]
	s_waitcnt vmcnt(3)
	v_mul_f64 v[111:112], v[92:93], v[76:77]
	v_mul_f64 v[76:77], v[90:91], v[76:77]
	v_fma_f64 v[24:25], v[64:65], v[24:25], v[109:110]
	v_fma_f64 v[30:31], v[68:69], v[28:29], v[30:31]
	v_mul_f64 v[109:110], v[101:102], v[60:61]
	v_fma_f64 v[32:33], v[82:83], v[36:37], -v[113:114]
	v_mul_f64 v[60:61], v[99:100], v[60:61]
	s_waitcnt vmcnt(2)
	v_mul_f64 v[82:83], v[105:106], v[80:81]
	v_mul_f64 v[80:81], v[103:104], v[80:81]
	v_fma_f64 v[28:29], v[84:85], v[36:37], v[38:39]
	v_fma_f64 v[38:39], v[86:87], v[40:41], -v[115:116]
	v_fma_f64 v[36:37], v[88:89], v[40:41], v[42:43]
	s_waitcnt vmcnt(1) lgkmcnt(1)
	v_mul_f64 v[62:63], v[10:11], v[6:7]
	v_mul_f64 v[64:65], v[8:9], v[6:7]
	s_waitcnt vmcnt(0) lgkmcnt(0)
	v_mul_f64 v[66:67], v[14:15], v[2:3]
	v_mul_f64 v[68:69], v[12:13], v[2:3]
	v_fma_f64 v[6:7], v[95:96], v[54:55], -v[107:108]
	v_fma_f64 v[2:3], v[97:98], v[54:55], v[56:57]
	v_fma_f64 v[42:43], v[90:91], v[74:75], -v[111:112]
	v_fma_f64 v[40:41], v[92:93], v[74:75], v[76:77]
	v_mov_b32_e32 v74, 0x310
	v_add_f64 v[75:76], v[20:21], v[24:25]
	v_fma_f64 v[56:57], v[99:100], v[58:59], -v[109:110]
	v_add_f64 v[20:21], v[20:21], -v[24:25]
	v_fma_f64 v[54:55], v[101:102], v[58:59], v[60:61]
	v_fma_f64 v[60:61], v[103:104], v[78:79], -v[82:83]
	v_fma_f64 v[58:59], v[105:106], v[78:79], v[80:81]
	v_mul_u32_u24_sdwa v71, v71, v74 dst_sel:DWORD dst_unused:UNUSED_PAD src0_sel:WORD_0 src1_sel:DWORD
	v_mul_u32_u24_sdwa v108, v73, v74 dst_sel:DWORD dst_unused:UNUSED_PAD src0_sel:WORD_0 src1_sel:DWORD
	v_add_f64 v[73:74], v[16:17], v[30:31]
	v_add_f64 v[16:17], v[16:17], -v[30:31]
	v_mov_b32_e32 v93, 4
	v_fma_f64 v[62:63], v[8:9], v[4:5], -v[62:63]
	v_fma_f64 v[4:5], v[10:11], v[4:5], v[64:65]
	v_fma_f64 v[64:65], v[12:13], v[0:1], -v[66:67]
	v_fma_f64 v[0:1], v[14:15], v[0:1], v[68:69]
	v_add_f64 v[66:67], v[18:19], v[34:35]
	v_add_f64 v[68:69], v[22:23], v[26:27]
	v_add_f64 v[77:78], v[32:33], v[6:7]
	v_add_f64 v[81:82], v[28:29], v[2:3]
	v_add_f64 v[79:80], v[38:39], v[42:43]
	v_add_f64 v[83:84], v[36:37], v[40:41]
	v_add_f64 v[22:23], v[22:23], -v[26:27]
	v_add_f64 v[18:19], v[18:19], -v[34:35]
	;; [unrolled: 1-line block ×5, first 2 shown]
	v_add_f64 v[85:86], v[56:57], v[60:61]
	v_add_f64 v[87:88], v[54:55], v[58:59]
	v_add_f64 v[26:27], v[60:61], -v[56:57]
	v_add_f64 v[24:25], v[58:59], -v[54:55]
	v_add_f64 v[28:29], v[75:76], v[73:74]
	v_add_f64 v[38:39], v[38:39], -v[42:43]
	v_add_f64 v[58:59], v[75:76], -v[73:74]
	ds_read_b128 v[8:11], v94
	ds_read_b128 v[12:15], v94 offset:784
	v_mul_u32_u24_e32 v107, 6, v46
	v_add_f64 v[30:31], v[62:63], v[64:65]
	v_add_f64 v[34:35], v[4:5], v[0:1]
	v_add_f64 v[0:1], v[0:1], -v[4:5]
	v_add_f64 v[4:5], v[68:69], v[66:67]
	v_add_f64 v[42:43], v[64:65], -v[62:63]
	v_add_f64 v[54:55], v[68:69], -v[66:67]
	v_add_f64 v[36:37], v[79:80], v[77:78]
	v_add_f64 v[40:41], v[83:84], v[81:82]
	v_add_f64 v[89:90], v[79:80], -v[77:78]
	v_add_f64 v[91:92], v[83:84], -v[81:82]
	v_lshlrev_b32_sdwa v70, v93, v70 dst_sel:DWORD dst_unused:UNUSED_PAD src0_sel:DWORD src1_sel:BYTE_0
	v_lshlrev_b32_sdwa v72, v93, v72 dst_sel:DWORD dst_unused:UNUSED_PAD src0_sel:DWORD src1_sel:BYTE_0
	s_waitcnt lgkmcnt(0)
	v_add_f64 v[56:57], v[85:86], -v[68:69]
	v_add_f64 v[60:61], v[87:88], -v[75:76]
	v_add_f64 v[62:63], v[26:27], v[22:23]
	v_add_f64 v[64:65], v[26:27], -v[22:23]
	v_add_f64 v[22:23], v[22:23], -v[18:19]
	v_add_f64 v[68:69], v[24:25], v[20:21]
	v_add_f64 v[75:76], v[24:25], -v[20:21]
	v_add_f64 v[20:21], v[20:21], -v[16:17]
	;; [unrolled: 1-line block ×4, first 2 shown]
	v_add_f64 v[28:29], v[87:88], v[28:29]
	v_add_f64 v[99:100], v[0:1], v[32:33]
	;; [unrolled: 1-line block ×3, first 2 shown]
	v_add_f64 v[4:5], v[0:1], -v[32:33]
	v_add_f64 v[79:80], v[30:31], -v[79:80]
	;; [unrolled: 1-line block ×3, first 2 shown]
	v_add_f64 v[95:96], v[42:43], v[38:39]
	v_add_f64 v[97:98], v[42:43], -v[38:39]
	v_add_f64 v[38:39], v[38:39], -v[6:7]
	v_add_f64 v[32:33], v[32:33], -v[2:3]
	v_add_f64 v[77:78], v[77:78], -v[30:31]
	v_add_f64 v[81:82], v[81:82], -v[34:35]
	v_add_f64 v[30:31], v[30:31], v[36:37]
	v_add_f64 v[34:35], v[34:35], v[40:41]
	v_add_f64 v[26:27], v[18:19], -v[26:27]
	v_add_f64 v[24:25], v[16:17], -v[24:25]
	;; [unrolled: 1-line block ×3, first 2 shown]
	v_add_f64 v[18:19], v[62:63], v[18:19]
	v_add_f64 v[16:17], v[68:69], v[16:17]
	v_mul_f64 v[36:37], v[56:57], s[8:9]
	v_mul_f64 v[40:41], v[60:61], s[8:9]
	;; [unrolled: 1-line block ×8, first 2 shown]
	v_add_f64 v[99:100], v[99:100], v[2:3]
	v_add_f64 v[0:1], v[8:9], v[85:86]
	;; [unrolled: 1-line block ×3, first 2 shown]
	v_mul_f64 v[10:11], v[4:5], s[26:27]
	v_add_f64 v[42:43], v[6:7], -v[42:43]
	v_add_f64 v[95:96], v[95:96], v[6:7]
	v_mul_f64 v[8:9], v[97:98], s[26:27]
	v_mul_f64 v[97:98], v[79:80], s[8:9]
	;; [unrolled: 1-line block ×7, first 2 shown]
	v_add_f64 v[4:5], v[12:13], v[30:31]
	v_add_f64 v[6:7], v[14:15], v[34:35]
	v_fma_f64 v[12:13], v[54:55], s[18:19], -v[36:37]
	v_fma_f64 v[14:15], v[58:59], s[18:19], -v[40:41]
	;; [unrolled: 1-line block ×8, first 2 shown]
	v_fma_f64 v[26:27], v[26:27], s[20:21], v[62:63]
	v_fma_f64 v[24:25], v[24:25], s[20:21], v[64:65]
	;; [unrolled: 1-line block ×6, first 2 shown]
	v_fma_f64 v[32:33], v[32:33], s[22:23], -v[10:11]
	v_fma_f64 v[64:65], v[89:90], s[18:19], -v[97:98]
	;; [unrolled: 1-line block ×7, first 2 shown]
	v_fma_f64 v[30:31], v[30:31], s[4:5], v[4:5]
	v_fma_f64 v[34:35], v[34:35], s[4:5], v[6:7]
	;; [unrolled: 1-line block ×6, first 2 shown]
	v_fma_f64 v[85:86], v[91:92], s[16:17], -v[81:82]
	v_fma_f64 v[22:23], v[18:19], s[14:15], v[22:23]
	v_fma_f64 v[20:21], v[16:17], s[14:15], v[20:21]
	;; [unrolled: 1-line block ×4, first 2 shown]
	v_add_f64 v[12:13], v[12:13], v[62:63]
	v_add_f64 v[14:15], v[14:15], v[28:29]
	v_fma_f64 v[79:80], v[18:19], s[14:15], v[26:27]
	v_fma_f64 v[81:82], v[16:17], s[14:15], v[24:25]
	v_add_f64 v[24:25], v[54:55], v[62:63]
	v_add_f64 v[26:27], v[58:59], v[28:29]
	v_fma_f64 v[54:55], v[99:100], s[14:15], v[32:33]
	v_add_f64 v[32:33], v[56:57], v[62:63]
	v_add_f64 v[56:57], v[60:61], v[28:29]
	v_fma_f64 v[60:61], v[95:96], s[14:15], v[68:69]
	v_fma_f64 v[58:59], v[99:100], s[14:15], v[73:74]
	v_add_f64 v[62:63], v[64:65], v[30:31]
	v_add_f64 v[64:65], v[66:67], v[34:35]
	v_fma_f64 v[66:67], v[95:96], s[14:15], v[8:9]
	v_fma_f64 v[68:69], v[99:100], s[14:15], v[10:11]
	v_add_f64 v[73:74], v[75:76], v[30:31]
	v_add_f64 v[75:76], v[42:43], v[30:31]
	;; [unrolled: 1-line block ×4, first 2 shown]
	v_fma_f64 v[38:39], v[95:96], s[14:15], v[38:39]
	s_barrier
	buffer_gl0_inv
	v_add_f64 v[8:9], v[12:13], -v[20:21]
	v_add_f64 v[10:11], v[22:23], v[14:15]
	v_add_f64 v[12:13], v[20:21], v[12:13]
	v_add_f64 v[14:15], v[14:15], -v[22:23]
	v_add_f64 v[16:17], v[40:41], v[24:25]
	v_add_f64 v[18:19], v[26:27], -v[36:37]
	v_add_f64 v[20:21], v[24:25], -v[40:41]
	v_add_f64 v[22:23], v[36:37], v[26:27]
	v_add_f64 v[24:25], v[81:82], v[32:33]
	v_add_f64 v[26:27], v[56:57], -v[79:80]
	v_add_f64 v[28:29], v[32:33], -v[81:82]
	v_add_f64 v[30:31], v[79:80], v[56:57]
	v_add_f64 v[32:33], v[62:63], -v[54:55]
	v_add_f64 v[36:37], v[54:55], v[62:63]
	v_add_f64 v[40:41], v[58:59], v[73:74]
	;; [unrolled: 1-line block ×3, first 2 shown]
	v_add_f64 v[56:57], v[77:78], -v[66:67]
	v_add_f64 v[42:43], v[83:84], -v[60:61]
	v_add_f64 v[34:35], v[38:39], v[64:65]
	v_add_f64 v[38:39], v[64:65], -v[38:39]
	v_add_f64 v[58:59], v[73:74], -v[58:59]
	v_add_f64 v[60:61], v[60:61], v[83:84]
	v_add_f64 v[62:63], v[75:76], -v[68:69]
	v_add_f64 v[64:65], v[66:67], v[77:78]
	v_lshlrev_b32_e32 v68, 4, v107
	v_add3_u32 v66, 0, v71, v70
	v_add3_u32 v67, 0, v108, v72
	ds_write_b128 v66, v[0:3]
	ds_write_b128 v66, v[24:27] offset:112
	ds_write_b128 v66, v[16:19] offset:224
	;; [unrolled: 1-line block ×6, first 2 shown]
	ds_write_b128 v67, v[4:7]
	ds_write_b128 v67, v[54:57] offset:112
	ds_write_b128 v67, v[40:43] offset:224
	;; [unrolled: 1-line block ×6, first 2 shown]
	s_waitcnt lgkmcnt(0)
	s_barrier
	buffer_gl0_inv
	s_clause 0x5
	global_load_dwordx4 v[60:63], v68, s[12:13] offset:672
	global_load_dwordx4 v[64:67], v68, s[12:13] offset:688
	;; [unrolled: 1-line block ×6, first 2 shown]
	ds_read_b128 v[54:57], v94 offset:1568
	ds_read_b128 v[78:81], v94 offset:2352
	;; [unrolled: 1-line block ×12, first 2 shown]
	s_waitcnt vmcnt(5) lgkmcnt(11)
	v_mul_f64 v[58:59], v[56:57], v[62:63]
	v_mul_f64 v[74:75], v[54:55], v[62:63]
	s_waitcnt lgkmcnt(10)
	v_mul_f64 v[82:83], v[80:81], v[62:63]
	v_mul_f64 v[62:63], v[78:79], v[62:63]
	s_waitcnt vmcnt(4) lgkmcnt(9)
	v_mul_f64 v[99:100], v[88:89], v[66:67]
	v_mul_f64 v[101:102], v[86:87], v[66:67]
	s_waitcnt lgkmcnt(8)
	v_mul_f64 v[103:104], v[92:93], v[66:67]
	v_mul_f64 v[105:106], v[90:91], v[66:67]
	s_waitcnt vmcnt(2) lgkmcnt(6)
	v_mul_f64 v[107:108], v[97:98], v[10:11]
	v_mul_f64 v[109:110], v[95:96], v[10:11]
	s_waitcnt vmcnt(1) lgkmcnt(5)
	v_mul_f64 v[72:73], v[30:31], v[14:15]
	v_mul_f64 v[70:71], v[28:29], v[14:15]
	;; [unrolled: 1-line block ×3, first 2 shown]
	s_waitcnt lgkmcnt(4)
	v_mul_f64 v[68:69], v[22:23], v[14:15]
	s_waitcnt lgkmcnt(3)
	v_mul_f64 v[76:77], v[40:41], v[10:11]
	s_waitcnt vmcnt(0) lgkmcnt(2)
	v_mul_f64 v[84:85], v[24:25], v[6:7]
	v_fma_f64 v[58:59], v[54:55], v[60:61], -v[58:59]
	v_fma_f64 v[54:55], v[56:57], v[60:61], v[74:75]
	v_mul_f64 v[74:75], v[42:43], v[10:11]
	v_fma_f64 v[56:57], v[78:79], v[60:61], -v[82:83]
	v_mul_f64 v[82:83], v[20:21], v[14:15]
	v_fma_f64 v[10:11], v[80:81], v[60:61], v[62:63]
	v_mul_f64 v[78:79], v[16:17], v[2:3]
	v_mul_f64 v[80:81], v[26:27], v[6:7]
	v_fma_f64 v[62:63], v[86:87], v[64:65], -v[99:100]
	v_fma_f64 v[60:61], v[88:89], v[64:65], v[101:102]
	s_waitcnt lgkmcnt(1)
	v_mul_f64 v[86:87], v[38:39], v[2:3]
	v_mul_f64 v[88:89], v[36:37], v[2:3]
	v_fma_f64 v[14:15], v[90:91], v[64:65], -v[103:104]
	v_fma_f64 v[2:3], v[92:93], v[64:65], v[105:106]
	s_waitcnt lgkmcnt(0)
	v_mul_f64 v[90:91], v[34:35], v[6:7]
	v_mul_f64 v[92:93], v[32:33], v[6:7]
	v_fma_f64 v[64:65], v[95:96], v[8:9], -v[107:108]
	v_fma_f64 v[6:7], v[97:98], v[8:9], v[109:110]
	v_fma_f64 v[28:29], v[28:29], v[12:13], -v[72:73]
	v_fma_f64 v[30:31], v[30:31], v[12:13], v[70:71]
	v_fma_f64 v[16:17], v[16:17], v[0:1], -v[66:67]
	v_fma_f64 v[66:67], v[20:21], v[12:13], -v[68:69]
	v_add_co_u32 v101, s0, s12, v52
	v_fma_f64 v[40:41], v[40:41], v[8:9], -v[74:75]
	v_fma_f64 v[8:9], v[42:43], v[8:9], v[76:77]
	v_fma_f64 v[12:13], v[22:23], v[12:13], v[82:83]
	;; [unrolled: 1-line block ×4, first 2 shown]
	v_fma_f64 v[20:21], v[24:25], v[4:5], -v[80:81]
	v_add_co_ci_u32_e64 v102, s0, s13, v53, s0
	v_fma_f64 v[24:25], v[36:37], v[0:1], -v[86:87]
	v_fma_f64 v[0:1], v[38:39], v[0:1], v[88:89]
	v_fma_f64 v[26:27], v[32:33], v[4:5], -v[90:91]
	v_fma_f64 v[4:5], v[34:35], v[4:5], v[92:93]
	v_add_f64 v[32:33], v[58:59], v[64:65]
	v_add_f64 v[36:37], v[54:55], v[6:7]
	;; [unrolled: 1-line block ×4, first 2 shown]
	v_add_f64 v[28:29], v[62:63], -v[28:29]
	v_add_f64 v[52:53], v[14:15], v[66:67]
	v_add_f64 v[58:59], v[58:59], -v[64:65]
	v_add_f64 v[30:31], v[60:61], -v[30:31]
	v_add_f64 v[42:43], v[56:57], v[40:41]
	v_add_f64 v[68:69], v[10:11], v[8:9]
	;; [unrolled: 1-line block ×3, first 2 shown]
	v_add_f64 v[6:7], v[54:55], -v[6:7]
	v_add_f64 v[74:75], v[18:19], v[22:23]
	v_add_f64 v[72:73], v[16:17], v[20:21]
	v_add_f64 v[62:63], v[20:21], -v[16:17]
	v_add_f64 v[60:61], v[22:23], -v[18:19]
	;; [unrolled: 1-line block ×4, first 2 shown]
	ds_read_b128 v[16:19], v94
	ds_read_b128 v[20:23], v94 offset:784
	s_waitcnt lgkmcnt(0)
	v_add_f64 v[54:55], v[24:25], v[26:27]
	v_add_f64 v[64:65], v[0:1], v[4:5]
	v_add_f64 v[0:1], v[4:5], -v[0:1]
	v_add_f64 v[4:5], v[10:11], -v[8:9]
	v_add_f64 v[8:9], v[34:35], v[32:33]
	v_add_f64 v[10:11], v[38:39], v[36:37]
	v_add_f64 v[24:25], v[26:27], -v[24:25]
	v_add_f64 v[26:27], v[56:57], -v[40:41]
	v_add_f64 v[56:57], v[34:35], -v[32:33]
	v_add_f64 v[66:67], v[38:39], -v[36:37]
	v_add_f64 v[12:13], v[52:53], v[42:43]
	v_add_f64 v[84:85], v[52:53], -v[42:43]
	v_add_f64 v[40:41], v[70:71], v[68:69]
	v_add_f64 v[86:87], v[70:71], -v[68:69]
	v_add_f64 v[38:39], v[74:75], -v[38:39]
	;; [unrolled: 1-line block ×3, first 2 shown]
	v_add_f64 v[76:77], v[62:63], v[28:29]
	v_add_f64 v[78:79], v[62:63], -v[28:29]
	v_add_f64 v[28:29], v[28:29], -v[58:59]
	v_add_f64 v[80:81], v[60:61], v[30:31]
	v_add_f64 v[82:83], v[60:61], -v[30:31]
	v_add_f64 v[30:31], v[30:31], -v[6:7]
	;; [unrolled: 1-line block ×4, first 2 shown]
	v_add_f64 v[92:93], v[0:1], v[2:3]
	v_add_f64 v[95:96], v[0:1], -v[2:3]
	v_add_f64 v[8:9], v[72:73], v[8:9]
	v_add_f64 v[10:11], v[74:75], v[10:11]
	v_add_f64 v[88:89], v[24:25], v[14:15]
	v_add_f64 v[90:91], v[24:25], -v[14:15]
	v_add_f64 v[14:15], v[14:15], -v[26:27]
	;; [unrolled: 1-line block ×5, first 2 shown]
	v_add_f64 v[12:13], v[54:55], v[12:13]
	v_add_f64 v[40:41], v[64:65], v[40:41]
	v_add_f64 v[52:53], v[54:55], -v[52:53]
	v_add_f64 v[70:71], v[64:65], -v[70:71]
	;; [unrolled: 1-line block ×5, first 2 shown]
	v_add_f64 v[54:55], v[76:77], v[58:59]
	v_add_f64 v[58:59], v[80:81], v[6:7]
	v_mul_f64 v[64:65], v[34:35], s[8:9]
	v_mul_f64 v[74:75], v[38:39], s[8:9]
	v_mul_f64 v[76:77], v[78:79], s[26:27]
	v_mul_f64 v[78:79], v[82:83], s[26:27]
	v_mul_f64 v[80:81], v[28:29], s[22:23]
	v_mul_f64 v[82:83], v[30:31], s[22:23]
	v_mul_f64 v[32:33], v[32:33], s[6:7]
	v_mul_f64 v[36:37], v[36:37], s[6:7]
	v_add_f64 v[0:1], v[16:17], v[8:9]
	v_add_f64 v[2:3], v[18:19], v[10:11]
	v_add_f64 v[24:25], v[26:27], -v[24:25]
	v_add_f64 v[26:27], v[88:89], v[26:27]
	v_add_f64 v[88:89], v[92:93], v[4:5]
	v_mul_f64 v[90:91], v[90:91], s[26:27]
	v_mul_f64 v[92:93], v[95:96], s[26:27]
	;; [unrolled: 1-line block ×6, first 2 shown]
	v_add_f64 v[4:5], v[20:21], v[12:13]
	v_add_f64 v[6:7], v[22:23], v[40:41]
	v_mul_f64 v[16:17], v[52:53], s[8:9]
	v_mul_f64 v[18:19], v[70:71], s[8:9]
	v_fma_f64 v[20:21], v[56:57], s[18:19], -v[64:65]
	v_fma_f64 v[22:23], v[66:67], s[18:19], -v[74:75]
	v_fma_f64 v[28:29], v[28:29], s[22:23], -v[76:77]
	v_fma_f64 v[30:31], v[30:31], s[22:23], -v[78:79]
	v_fma_f64 v[64:65], v[62:63], s[24:25], -v[80:81]
	v_fma_f64 v[74:75], v[60:61], s[24:25], -v[82:83]
	v_fma_f64 v[56:57], v[56:57], s[16:17], -v[32:33]
	v_fma_f64 v[62:63], v[62:63], s[20:21], v[76:77]
	v_fma_f64 v[60:61], v[60:61], s[20:21], v[78:79]
	v_fma_f64 v[32:33], v[34:35], s[8:9], v[32:33]
	v_fma_f64 v[34:35], v[38:39], s[8:9], v[36:37]
	v_fma_f64 v[8:9], v[8:9], s[4:5], v[0:1]
	v_fma_f64 v[10:11], v[10:11], s[4:5], v[2:3]
	v_fma_f64 v[66:67], v[66:67], s[16:17], -v[36:37]
	v_fma_f64 v[38:39], v[24:25], s[24:25], -v[95:96]
	;; [unrolled: 1-line block ×4, first 2 shown]
	v_fma_f64 v[24:25], v[24:25], s[20:21], v[90:91]
	v_fma_f64 v[72:73], v[72:73], s[20:21], v[92:93]
	;; [unrolled: 1-line block ×6, first 2 shown]
	v_fma_f64 v[80:81], v[86:87], s[16:17], -v[68:69]
	v_fma_f64 v[14:15], v[14:15], s[22:23], -v[90:91]
	;; [unrolled: 1-line block ×5, first 2 shown]
	v_fma_f64 v[28:29], v[54:55], s[14:15], v[28:29]
	v_fma_f64 v[30:31], v[58:59], s[14:15], v[30:31]
	;; [unrolled: 1-line block ×6, first 2 shown]
	v_add_f64 v[32:33], v[32:33], v[8:9]
	v_add_f64 v[34:35], v[34:35], v[10:11]
	;; [unrolled: 1-line block ×6, first 2 shown]
	v_fma_f64 v[74:75], v[26:27], s[14:15], v[24:25]
	v_fma_f64 v[72:73], v[88:89], s[14:15], v[72:73]
	;; [unrolled: 1-line block ×3, first 2 shown]
	v_add_f64 v[82:83], v[42:43], v[12:13]
	v_add_f64 v[84:85], v[52:53], v[40:41]
	v_fma_f64 v[70:71], v[88:89], s[14:15], v[76:77]
	v_add_f64 v[78:79], v[78:79], v[12:13]
	v_add_f64 v[80:81], v[80:81], v[40:41]
	v_fma_f64 v[60:61], v[26:27], s[14:15], v[14:15]
	v_fma_f64 v[36:37], v[88:89], s[14:15], v[36:37]
	v_add_f64 v[38:39], v[16:17], v[12:13]
	v_add_f64 v[76:77], v[18:19], v[40:41]
	v_add_co_u32 v86, s0, s12, v50
	v_add_co_ci_u32_e64 v87, s0, s13, v51, s0
	v_add_f64 v[24:25], v[58:59], v[32:33]
	v_add_f64 v[26:27], v[34:35], -v[54:55]
	v_add_f64 v[16:17], v[68:69], v[56:57]
	v_add_f64 v[18:19], v[62:63], -v[64:65]
	v_add_f64 v[8:9], v[20:21], -v[30:31]
	v_add_f64 v[10:11], v[28:29], v[22:23]
	v_add_f64 v[12:13], v[30:31], v[20:21]
	v_add_f64 v[14:15], v[22:23], -v[28:29]
	v_add_f64 v[20:21], v[56:57], -v[68:69]
	v_add_f64 v[22:23], v[64:65], v[62:63]
	v_add_f64 v[28:29], v[32:33], -v[58:59]
	v_add_f64 v[30:31], v[54:55], v[34:35]
	v_add_f64 v[50:51], v[72:73], v[82:83]
	v_add_f64 v[52:53], v[84:85], -v[74:75]
	v_add_f64 v[40:41], v[70:71], v[78:79]
	v_add_f64 v[42:43], v[80:81], -v[66:67]
	v_add_f64 v[32:33], v[38:39], -v[36:37]
	v_add_f64 v[34:35], v[60:61], v[76:77]
	v_add_f64 v[36:37], v[36:37], v[38:39]
	v_add_f64 v[38:39], v[76:77], -v[60:61]
	v_add_f64 v[54:55], v[78:79], -v[70:71]
	v_add_f64 v[56:57], v[66:67], v[80:81]
	v_add_f64 v[58:59], v[82:83], -v[72:73]
	v_add_f64 v[60:61], v[74:75], v[84:85]
	v_add_co_u32 v62, s0, 0x1000, v101
	v_add_co_ci_u32_e64 v63, s0, 0, v102, s0
	v_add_co_u32 v64, s0, 0x1800, v86
	v_add_co_ci_u32_e64 v65, s0, 0, v87, s0
	s_barrier
	buffer_gl0_inv
	ds_write_b128 v94, v[0:3]
	ds_write_b128 v94, v[4:7] offset:5488
	ds_write_b128 v94, v[24:27] offset:784
	;; [unrolled: 1-line block ×13, first 2 shown]
	s_waitcnt lgkmcnt(0)
	s_barrier
	buffer_gl0_inv
	s_clause 0x1
	global_load_dwordx4 v[0:3], v[62:63], off offset:1280
	global_load_dwordx4 v[4:7], v[64:65], off offset:16
	v_add_co_u32 v24, s0, 0x2000, v86
	v_add_co_ci_u32_e64 v25, s0, 0, v87, s0
	s_clause 0x4
	global_load_dwordx4 v[8:11], v[64:65], off offset:800
	global_load_dwordx4 v[12:15], v[64:65], off offset:1584
	;; [unrolled: 1-line block ×5, first 2 shown]
	ds_read_b128 v[28:31], v94 offset:5488
	ds_read_b128 v[32:35], v94 offset:6272
	;; [unrolled: 1-line block ×8, first 2 shown]
	ds_read_b128 v[66:69], v94
	ds_read_b128 v[70:73], v94 offset:784
	ds_read_b128 v[74:77], v94 offset:1568
	;; [unrolled: 1-line block ×3, first 2 shown]
	s_waitcnt vmcnt(6) lgkmcnt(11)
	v_mul_f64 v[82:83], v[30:31], v[2:3]
	v_mul_f64 v[2:3], v[28:29], v[2:3]
	s_waitcnt vmcnt(5) lgkmcnt(10)
	v_mul_f64 v[84:85], v[34:35], v[6:7]
	v_mul_f64 v[6:7], v[32:33], v[6:7]
	;; [unrolled: 3-line block ×7, first 2 shown]
	v_fma_f64 v[82:83], v[28:29], v[0:1], -v[82:83]
	v_fma_f64 v[30:31], v[30:31], v[0:1], v[2:3]
	v_fma_f64 v[32:33], v[32:33], v[4:5], -v[84:85]
	v_fma_f64 v[34:35], v[34:35], v[4:5], v[6:7]
	v_fma_f64 v[36:37], v[36:37], v[8:9], -v[86:87]
	v_fma_f64 v[38:39], v[38:39], v[8:9], v[10:11]
	v_fma_f64 v[40:41], v[40:41], v[12:13], -v[88:89]
	v_fma_f64 v[42:43], v[42:43], v[12:13], v[14:15]
	v_fma_f64 v[50:51], v[50:51], v[16:17], -v[90:91]
	v_fma_f64 v[52:53], v[52:53], v[16:17], v[18:19]
	v_fma_f64 v[54:55], v[54:55], v[20:21], -v[92:93]
	v_fma_f64 v[56:57], v[56:57], v[20:21], v[22:23]
	v_fma_f64 v[58:59], v[58:59], v[24:25], -v[95:96]
	v_fma_f64 v[24:25], v[60:61], v[24:25], v[97:98]
	ds_read_b128 v[0:3], v94 offset:3136
	ds_read_b128 v[26:29], v94 offset:3920
	s_waitcnt lgkmcnt(0)
	s_barrier
	buffer_gl0_inv
	v_add_f64 v[4:5], v[66:67], -v[82:83]
	v_add_f64 v[6:7], v[68:69], -v[30:31]
	;; [unrolled: 1-line block ×14, first 2 shown]
	v_fma_f64 v[38:39], v[66:67], 2.0, -v[4:5]
	v_fma_f64 v[40:41], v[68:69], 2.0, -v[6:7]
	;; [unrolled: 1-line block ×14, first 2 shown]
	ds_write_b128 v94, v[4:7] offset:5488
	ds_write_b128 v94, v[8:11] offset:6272
	ds_write_b128 v94, v[12:15] offset:7056
	ds_write_b128 v94, v[16:19] offset:7840
	ds_write_b128 v94, v[20:23] offset:8624
	ds_write_b128 v94, v[30:33] offset:9408
	ds_write_b128 v94, v[34:37] offset:10192
	ds_write_b128 v94, v[38:41]
	ds_write_b128 v94, v[50:53] offset:784
	ds_write_b128 v94, v[54:57] offset:1568
	;; [unrolled: 1-line block ×6, first 2 shown]
	s_waitcnt lgkmcnt(0)
	s_barrier
	buffer_gl0_inv
	s_and_saveexec_b32 s0, vcc_lo
	s_cbranch_execz .LBB0_21
; %bb.20:
	v_mul_lo_u32 v2, s3, v48
	v_mul_lo_u32 v3, s2, v49
	v_mad_u64_u32 v[0:1], null, s2, v48, 0
	v_lshl_add_u32 v30, v46, 4, 0
	v_lshlrev_b64 v[8:9], 4, v[44:45]
	v_add_nc_u32_e32 v10, 49, v46
	v_mov_b32_e32 v11, v47
	v_lshlrev_b64 v[12:13], 4, v[46:47]
	v_add_nc_u32_e32 v16, 0x62, v46
	v_add3_u32 v1, v1, v3, v2
	v_mov_b32_e32 v17, v47
	v_add_nc_u32_e32 v22, 0x93, v46
	v_mov_b32_e32 v23, v47
	v_add_nc_u32_e32 v28, 0x188, v46
	v_lshlrev_b64 v[14:15], 4, v[0:1]
	ds_read_b128 v[0:3], v30
	ds_read_b128 v[4:7], v30 offset:784
	v_lshlrev_b64 v[16:17], 4, v[16:17]
	v_mov_b32_e32 v29, v47
	v_add_co_u32 v18, vcc_lo, s10, v14
	v_add_co_ci_u32_e32 v19, vcc_lo, s11, v15, vcc_lo
	v_lshlrev_b64 v[14:15], 4, v[10:11]
	v_add_co_u32 v31, vcc_lo, v18, v8
	v_add_co_ci_u32_e32 v32, vcc_lo, v19, v9, vcc_lo
	ds_read_b128 v[8:11], v30 offset:1568
	v_add_co_u32 v18, vcc_lo, v31, v12
	v_add_co_ci_u32_e32 v19, vcc_lo, v32, v13, vcc_lo
	v_add_co_u32 v20, vcc_lo, v31, v14
	v_add_co_ci_u32_e32 v21, vcc_lo, v32, v15, vcc_lo
	ds_read_b128 v[12:15], v30 offset:2352
	s_waitcnt lgkmcnt(3)
	global_store_dwordx4 v[18:19], v[0:3], off
	s_waitcnt lgkmcnt(2)
	global_store_dwordx4 v[20:21], v[4:7], off
	v_lshlrev_b64 v[0:1], 4, v[22:23]
	v_add_co_u32 v2, vcc_lo, v31, v16
	v_add_co_ci_u32_e32 v3, vcc_lo, v32, v17, vcc_lo
	v_add_nc_u32_e32 v4, 0xc4, v46
	v_add_co_u32 v0, vcc_lo, v31, v0
	v_add_co_ci_u32_e32 v1, vcc_lo, v32, v1, vcc_lo
	v_mov_b32_e32 v5, v47
	s_waitcnt lgkmcnt(1)
	global_store_dwordx4 v[2:3], v[8:11], off
	v_add_nc_u32_e32 v8, 0xf5, v46
	v_mov_b32_e32 v9, v47
	v_add_nc_u32_e32 v16, 0x126, v46
	v_mov_b32_e32 v17, v47
	s_waitcnt lgkmcnt(0)
	global_store_dwordx4 v[0:1], v[12:15], off
	v_lshlrev_b64 v[12:13], 4, v[4:5]
	ds_read_b128 v[0:3], v30 offset:3136
	ds_read_b128 v[4:7], v30 offset:3920
	v_lshlrev_b64 v[14:15], 4, v[8:9]
	ds_read_b128 v[8:11], v30 offset:4704
	v_add_co_u32 v20, vcc_lo, v31, v12
	v_add_co_ci_u32_e32 v21, vcc_lo, v32, v13, vcc_lo
	v_lshlrev_b64 v[12:13], 4, v[16:17]
	v_add_nc_u32_e32 v16, 0x157, v46
	v_add_co_u32 v22, vcc_lo, v31, v14
	v_add_co_ci_u32_e32 v23, vcc_lo, v32, v15, vcc_lo
	v_lshlrev_b64 v[26:27], 4, v[16:17]
	ds_read_b128 v[16:19], v30 offset:6272
	v_add_co_u32 v24, vcc_lo, v31, v12
	v_add_co_ci_u32_e32 v25, vcc_lo, v32, v13, vcc_lo
	ds_read_b128 v[12:15], v30 offset:5488
	s_waitcnt lgkmcnt(4)
	global_store_dwordx4 v[20:21], v[0:3], off
	s_waitcnt lgkmcnt(3)
	global_store_dwordx4 v[22:23], v[4:7], off
	;; [unrolled: 2-line block ×3, first 2 shown]
	v_lshlrev_b64 v[0:1], 4, v[28:29]
	v_add_co_u32 v2, vcc_lo, v31, v26
	v_add_co_ci_u32_e32 v3, vcc_lo, v32, v27, vcc_lo
	v_add_nc_u32_e32 v4, 0x1b9, v46
	v_mov_b32_e32 v5, v47
	v_add_co_u32 v6, vcc_lo, v31, v0
	v_add_co_ci_u32_e32 v7, vcc_lo, v32, v1, vcc_lo
	v_add_nc_u32_e32 v8, 0x1ea, v46
	v_mov_b32_e32 v9, v47
	v_lshlrev_b64 v[4:5], 4, v[4:5]
	s_waitcnt lgkmcnt(1)
	global_store_dwordx4 v[6:7], v[16:19], off
	v_add_nc_u32_e32 v24, 0x24c, v46
	v_mov_b32_e32 v25, v47
	v_lshlrev_b64 v[6:7], 4, v[8:9]
	s_waitcnt lgkmcnt(0)
	global_store_dwordx4 v[2:3], v[12:15], off
	v_add_co_u32 v20, vcc_lo, v31, v4
	v_add_nc_u32_e32 v12, 0x21b, v46
	v_mov_b32_e32 v13, v47
	v_add_co_ci_u32_e32 v21, vcc_lo, v32, v5, vcc_lo
	v_add_co_u32 v22, vcc_lo, v31, v6
	ds_read_b128 v[0:3], v30 offset:7056
	v_add_co_ci_u32_e32 v23, vcc_lo, v32, v7, vcc_lo
	ds_read_b128 v[4:7], v30 offset:7840
	ds_read_b128 v[8:11], v30 offset:8624
	v_lshlrev_b64 v[26:27], 4, v[12:13]
	ds_read_b128 v[12:15], v30 offset:9408
	ds_read_b128 v[16:19], v30 offset:10192
	v_add_nc_u32_e32 v46, 0x27d, v46
	v_lshlrev_b64 v[24:25], 4, v[24:25]
	v_add_co_u32 v26, vcc_lo, v31, v26
	v_lshlrev_b64 v[28:29], 4, v[46:47]
	v_add_co_ci_u32_e32 v27, vcc_lo, v32, v27, vcc_lo
	v_add_co_u32 v24, vcc_lo, v31, v24
	v_add_co_ci_u32_e32 v25, vcc_lo, v32, v25, vcc_lo
	v_add_co_u32 v28, vcc_lo, v31, v28
	v_add_co_ci_u32_e32 v29, vcc_lo, v32, v29, vcc_lo
	s_waitcnt lgkmcnt(4)
	global_store_dwordx4 v[20:21], v[0:3], off
	s_waitcnt lgkmcnt(3)
	global_store_dwordx4 v[22:23], v[4:7], off
	;; [unrolled: 2-line block ×5, first 2 shown]
.LBB0_21:
	s_endpgm
	.section	.rodata,"a",@progbits
	.p2align	6, 0x0
	.amdhsa_kernel fft_rtc_fwd_len686_factors_7_7_7_2_wgs_49_tpt_49_dp_op_CI_CI_unitstride_sbrr_C2R_dirReg
		.amdhsa_group_segment_fixed_size 0
		.amdhsa_private_segment_fixed_size 0
		.amdhsa_kernarg_size 104
		.amdhsa_user_sgpr_count 6
		.amdhsa_user_sgpr_private_segment_buffer 1
		.amdhsa_user_sgpr_dispatch_ptr 0
		.amdhsa_user_sgpr_queue_ptr 0
		.amdhsa_user_sgpr_kernarg_segment_ptr 1
		.amdhsa_user_sgpr_dispatch_id 0
		.amdhsa_user_sgpr_flat_scratch_init 0
		.amdhsa_user_sgpr_private_segment_size 0
		.amdhsa_wavefront_size32 1
		.amdhsa_uses_dynamic_stack 0
		.amdhsa_system_sgpr_private_segment_wavefront_offset 0
		.amdhsa_system_sgpr_workgroup_id_x 1
		.amdhsa_system_sgpr_workgroup_id_y 0
		.amdhsa_system_sgpr_workgroup_id_z 0
		.amdhsa_system_sgpr_workgroup_info 0
		.amdhsa_system_vgpr_workitem_id 0
		.amdhsa_next_free_vgpr 117
		.amdhsa_next_free_sgpr 28
		.amdhsa_reserve_vcc 1
		.amdhsa_reserve_flat_scratch 0
		.amdhsa_float_round_mode_32 0
		.amdhsa_float_round_mode_16_64 0
		.amdhsa_float_denorm_mode_32 3
		.amdhsa_float_denorm_mode_16_64 3
		.amdhsa_dx10_clamp 1
		.amdhsa_ieee_mode 1
		.amdhsa_fp16_overflow 0
		.amdhsa_workgroup_processor_mode 1
		.amdhsa_memory_ordered 1
		.amdhsa_forward_progress 0
		.amdhsa_shared_vgpr_count 0
		.amdhsa_exception_fp_ieee_invalid_op 0
		.amdhsa_exception_fp_denorm_src 0
		.amdhsa_exception_fp_ieee_div_zero 0
		.amdhsa_exception_fp_ieee_overflow 0
		.amdhsa_exception_fp_ieee_underflow 0
		.amdhsa_exception_fp_ieee_inexact 0
		.amdhsa_exception_int_div_zero 0
	.end_amdhsa_kernel
	.text
.Lfunc_end0:
	.size	fft_rtc_fwd_len686_factors_7_7_7_2_wgs_49_tpt_49_dp_op_CI_CI_unitstride_sbrr_C2R_dirReg, .Lfunc_end0-fft_rtc_fwd_len686_factors_7_7_7_2_wgs_49_tpt_49_dp_op_CI_CI_unitstride_sbrr_C2R_dirReg
                                        ; -- End function
	.section	.AMDGPU.csdata,"",@progbits
; Kernel info:
; codeLenInByte = 10828
; NumSgprs: 30
; NumVgprs: 117
; ScratchSize: 0
; MemoryBound: 0
; FloatMode: 240
; IeeeMode: 1
; LDSByteSize: 0 bytes/workgroup (compile time only)
; SGPRBlocks: 3
; VGPRBlocks: 14
; NumSGPRsForWavesPerEU: 30
; NumVGPRsForWavesPerEU: 117
; Occupancy: 8
; WaveLimiterHint : 1
; COMPUTE_PGM_RSRC2:SCRATCH_EN: 0
; COMPUTE_PGM_RSRC2:USER_SGPR: 6
; COMPUTE_PGM_RSRC2:TRAP_HANDLER: 0
; COMPUTE_PGM_RSRC2:TGID_X_EN: 1
; COMPUTE_PGM_RSRC2:TGID_Y_EN: 0
; COMPUTE_PGM_RSRC2:TGID_Z_EN: 0
; COMPUTE_PGM_RSRC2:TIDIG_COMP_CNT: 0
	.text
	.p2alignl 6, 3214868480
	.fill 48, 4, 3214868480
	.type	__hip_cuid_2aa8cf354981db0,@object ; @__hip_cuid_2aa8cf354981db0
	.section	.bss,"aw",@nobits
	.globl	__hip_cuid_2aa8cf354981db0
__hip_cuid_2aa8cf354981db0:
	.byte	0                               ; 0x0
	.size	__hip_cuid_2aa8cf354981db0, 1

	.ident	"AMD clang version 19.0.0git (https://github.com/RadeonOpenCompute/llvm-project roc-6.4.0 25133 c7fe45cf4b819c5991fe208aaa96edf142730f1d)"
	.section	".note.GNU-stack","",@progbits
	.addrsig
	.addrsig_sym __hip_cuid_2aa8cf354981db0
	.amdgpu_metadata
---
amdhsa.kernels:
  - .args:
      - .actual_access:  read_only
        .address_space:  global
        .offset:         0
        .size:           8
        .value_kind:     global_buffer
      - .offset:         8
        .size:           8
        .value_kind:     by_value
      - .actual_access:  read_only
        .address_space:  global
        .offset:         16
        .size:           8
        .value_kind:     global_buffer
      - .actual_access:  read_only
        .address_space:  global
        .offset:         24
        .size:           8
        .value_kind:     global_buffer
      - .actual_access:  read_only
        .address_space:  global
        .offset:         32
        .size:           8
        .value_kind:     global_buffer
      - .offset:         40
        .size:           8
        .value_kind:     by_value
      - .actual_access:  read_only
        .address_space:  global
        .offset:         48
        .size:           8
        .value_kind:     global_buffer
      - .actual_access:  read_only
        .address_space:  global
        .offset:         56
        .size:           8
        .value_kind:     global_buffer
      - .offset:         64
        .size:           4
        .value_kind:     by_value
      - .actual_access:  read_only
        .address_space:  global
        .offset:         72
        .size:           8
        .value_kind:     global_buffer
      - .actual_access:  read_only
        .address_space:  global
        .offset:         80
        .size:           8
        .value_kind:     global_buffer
      - .actual_access:  read_only
        .address_space:  global
        .offset:         88
        .size:           8
        .value_kind:     global_buffer
      - .actual_access:  write_only
        .address_space:  global
        .offset:         96
        .size:           8
        .value_kind:     global_buffer
    .group_segment_fixed_size: 0
    .kernarg_segment_align: 8
    .kernarg_segment_size: 104
    .language:       OpenCL C
    .language_version:
      - 2
      - 0
    .max_flat_workgroup_size: 49
    .name:           fft_rtc_fwd_len686_factors_7_7_7_2_wgs_49_tpt_49_dp_op_CI_CI_unitstride_sbrr_C2R_dirReg
    .private_segment_fixed_size: 0
    .sgpr_count:     30
    .sgpr_spill_count: 0
    .symbol:         fft_rtc_fwd_len686_factors_7_7_7_2_wgs_49_tpt_49_dp_op_CI_CI_unitstride_sbrr_C2R_dirReg.kd
    .uniform_work_group_size: 1
    .uses_dynamic_stack: false
    .vgpr_count:     117
    .vgpr_spill_count: 0
    .wavefront_size: 32
    .workgroup_processor_mode: 1
amdhsa.target:   amdgcn-amd-amdhsa--gfx1030
amdhsa.version:
  - 1
  - 2
...

	.end_amdgpu_metadata
